;; amdgpu-corpus repo=ROCm/rocFFT kind=compiled arch=gfx906 opt=O3
	.text
	.amdgcn_target "amdgcn-amd-amdhsa--gfx906"
	.amdhsa_code_object_version 6
	.protected	fft_rtc_back_len1428_factors_17_2_7_6_wgs_119_tpt_119_halfLds_half_ip_CI_unitstride_sbrr_dirReg ; -- Begin function fft_rtc_back_len1428_factors_17_2_7_6_wgs_119_tpt_119_halfLds_half_ip_CI_unitstride_sbrr_dirReg
	.globl	fft_rtc_back_len1428_factors_17_2_7_6_wgs_119_tpt_119_halfLds_half_ip_CI_unitstride_sbrr_dirReg
	.p2align	8
	.type	fft_rtc_back_len1428_factors_17_2_7_6_wgs_119_tpt_119_halfLds_half_ip_CI_unitstride_sbrr_dirReg,@function
fft_rtc_back_len1428_factors_17_2_7_6_wgs_119_tpt_119_halfLds_half_ip_CI_unitstride_sbrr_dirReg: ; @fft_rtc_back_len1428_factors_17_2_7_6_wgs_119_tpt_119_halfLds_half_ip_CI_unitstride_sbrr_dirReg
; %bb.0:
	s_load_dwordx2 s[12:13], s[4:5], 0x50
	s_load_dwordx4 s[8:11], s[4:5], 0x0
	s_load_dwordx2 s[2:3], s[4:5], 0x18
	v_mul_u32_u24_e32 v1, 0x227, v0
	v_add_u32_sdwa v5, s6, v1 dst_sel:DWORD dst_unused:UNUSED_PAD src0_sel:DWORD src1_sel:WORD_1
	v_mov_b32_e32 v3, 0
	s_waitcnt lgkmcnt(0)
	v_cmp_lt_u64_e64 s[0:1], s[10:11], 2
	v_mov_b32_e32 v1, 0
	v_mov_b32_e32 v6, v3
	s_and_b64 vcc, exec, s[0:1]
	v_mov_b32_e32 v2, 0
	s_cbranch_vccnz .LBB0_8
; %bb.1:
	s_load_dwordx2 s[0:1], s[4:5], 0x10
	s_add_u32 s6, s2, 8
	s_addc_u32 s7, s3, 0
	v_mov_b32_e32 v1, 0
	v_mov_b32_e32 v2, 0
	s_waitcnt lgkmcnt(0)
	s_add_u32 s14, s0, 8
	s_addc_u32 s15, s1, 0
	s_mov_b64 s[16:17], 1
.LBB0_2:                                ; =>This Inner Loop Header: Depth=1
	s_load_dwordx2 s[18:19], s[14:15], 0x0
                                        ; implicit-def: $vgpr7_vgpr8
	s_waitcnt lgkmcnt(0)
	v_or_b32_e32 v4, s19, v6
	v_cmp_ne_u64_e32 vcc, 0, v[3:4]
	s_and_saveexec_b64 s[0:1], vcc
	s_xor_b64 s[20:21], exec, s[0:1]
	s_cbranch_execz .LBB0_4
; %bb.3:                                ;   in Loop: Header=BB0_2 Depth=1
	v_cvt_f32_u32_e32 v4, s18
	v_cvt_f32_u32_e32 v7, s19
	s_sub_u32 s0, 0, s18
	s_subb_u32 s1, 0, s19
	v_mac_f32_e32 v4, 0x4f800000, v7
	v_rcp_f32_e32 v4, v4
	v_mul_f32_e32 v4, 0x5f7ffffc, v4
	v_mul_f32_e32 v7, 0x2f800000, v4
	v_trunc_f32_e32 v7, v7
	v_mac_f32_e32 v4, 0xcf800000, v7
	v_cvt_u32_f32_e32 v7, v7
	v_cvt_u32_f32_e32 v4, v4
	v_mul_lo_u32 v8, s0, v7
	v_mul_hi_u32 v9, s0, v4
	v_mul_lo_u32 v11, s1, v4
	v_mul_lo_u32 v10, s0, v4
	v_add_u32_e32 v8, v9, v8
	v_add_u32_e32 v8, v8, v11
	v_mul_hi_u32 v9, v4, v10
	v_mul_lo_u32 v11, v4, v8
	v_mul_hi_u32 v13, v4, v8
	v_mul_hi_u32 v12, v7, v10
	v_mul_lo_u32 v10, v7, v10
	v_mul_hi_u32 v14, v7, v8
	v_add_co_u32_e32 v9, vcc, v9, v11
	v_addc_co_u32_e32 v11, vcc, 0, v13, vcc
	v_mul_lo_u32 v8, v7, v8
	v_add_co_u32_e32 v9, vcc, v9, v10
	v_addc_co_u32_e32 v9, vcc, v11, v12, vcc
	v_addc_co_u32_e32 v10, vcc, 0, v14, vcc
	v_add_co_u32_e32 v8, vcc, v9, v8
	v_addc_co_u32_e32 v9, vcc, 0, v10, vcc
	v_add_co_u32_e32 v4, vcc, v4, v8
	v_addc_co_u32_e32 v7, vcc, v7, v9, vcc
	v_mul_lo_u32 v8, s0, v7
	v_mul_hi_u32 v9, s0, v4
	v_mul_lo_u32 v10, s1, v4
	v_mul_lo_u32 v11, s0, v4
	v_add_u32_e32 v8, v9, v8
	v_add_u32_e32 v8, v8, v10
	v_mul_lo_u32 v12, v4, v8
	v_mul_hi_u32 v13, v4, v11
	v_mul_hi_u32 v14, v4, v8
	;; [unrolled: 1-line block ×3, first 2 shown]
	v_mul_lo_u32 v11, v7, v11
	v_mul_hi_u32 v9, v7, v8
	v_add_co_u32_e32 v12, vcc, v13, v12
	v_addc_co_u32_e32 v13, vcc, 0, v14, vcc
	v_mul_lo_u32 v8, v7, v8
	v_add_co_u32_e32 v11, vcc, v12, v11
	v_addc_co_u32_e32 v10, vcc, v13, v10, vcc
	v_addc_co_u32_e32 v9, vcc, 0, v9, vcc
	v_add_co_u32_e32 v8, vcc, v10, v8
	v_addc_co_u32_e32 v9, vcc, 0, v9, vcc
	v_add_co_u32_e32 v4, vcc, v4, v8
	v_addc_co_u32_e32 v9, vcc, v7, v9, vcc
	v_mad_u64_u32 v[7:8], s[0:1], v5, v9, 0
	v_mul_hi_u32 v10, v5, v4
	v_add_co_u32_e32 v11, vcc, v10, v7
	v_addc_co_u32_e32 v12, vcc, 0, v8, vcc
	v_mad_u64_u32 v[7:8], s[0:1], v6, v4, 0
	v_mad_u64_u32 v[9:10], s[0:1], v6, v9, 0
	v_add_co_u32_e32 v4, vcc, v11, v7
	v_addc_co_u32_e32 v4, vcc, v12, v8, vcc
	v_addc_co_u32_e32 v7, vcc, 0, v10, vcc
	v_add_co_u32_e32 v4, vcc, v4, v9
	v_addc_co_u32_e32 v9, vcc, 0, v7, vcc
	v_mul_lo_u32 v10, s19, v4
	v_mul_lo_u32 v11, s18, v9
	v_mad_u64_u32 v[7:8], s[0:1], s18, v4, 0
	v_add3_u32 v8, v8, v11, v10
	v_sub_u32_e32 v10, v6, v8
	v_mov_b32_e32 v11, s19
	v_sub_co_u32_e32 v7, vcc, v5, v7
	v_subb_co_u32_e64 v10, s[0:1], v10, v11, vcc
	v_subrev_co_u32_e64 v11, s[0:1], s18, v7
	v_subbrev_co_u32_e64 v10, s[0:1], 0, v10, s[0:1]
	v_cmp_le_u32_e64 s[0:1], s19, v10
	v_cndmask_b32_e64 v12, 0, -1, s[0:1]
	v_cmp_le_u32_e64 s[0:1], s18, v11
	v_cndmask_b32_e64 v11, 0, -1, s[0:1]
	v_cmp_eq_u32_e64 s[0:1], s19, v10
	v_cndmask_b32_e64 v10, v12, v11, s[0:1]
	v_add_co_u32_e64 v11, s[0:1], 2, v4
	v_addc_co_u32_e64 v12, s[0:1], 0, v9, s[0:1]
	v_add_co_u32_e64 v13, s[0:1], 1, v4
	v_addc_co_u32_e64 v14, s[0:1], 0, v9, s[0:1]
	v_subb_co_u32_e32 v8, vcc, v6, v8, vcc
	v_cmp_ne_u32_e64 s[0:1], 0, v10
	v_cmp_le_u32_e32 vcc, s19, v8
	v_cndmask_b32_e64 v10, v14, v12, s[0:1]
	v_cndmask_b32_e64 v12, 0, -1, vcc
	v_cmp_le_u32_e32 vcc, s18, v7
	v_cndmask_b32_e64 v7, 0, -1, vcc
	v_cmp_eq_u32_e32 vcc, s19, v8
	v_cndmask_b32_e32 v7, v12, v7, vcc
	v_cmp_ne_u32_e32 vcc, 0, v7
	v_cndmask_b32_e64 v7, v13, v11, s[0:1]
	v_cndmask_b32_e32 v8, v9, v10, vcc
	v_cndmask_b32_e32 v7, v4, v7, vcc
.LBB0_4:                                ;   in Loop: Header=BB0_2 Depth=1
	s_andn2_saveexec_b64 s[0:1], s[20:21]
	s_cbranch_execz .LBB0_6
; %bb.5:                                ;   in Loop: Header=BB0_2 Depth=1
	v_cvt_f32_u32_e32 v4, s18
	s_sub_i32 s20, 0, s18
	v_rcp_iflag_f32_e32 v4, v4
	v_mul_f32_e32 v4, 0x4f7ffffe, v4
	v_cvt_u32_f32_e32 v4, v4
	v_mul_lo_u32 v7, s20, v4
	v_mul_hi_u32 v7, v4, v7
	v_add_u32_e32 v4, v4, v7
	v_mul_hi_u32 v4, v5, v4
	v_mul_lo_u32 v7, v4, s18
	v_add_u32_e32 v8, 1, v4
	v_sub_u32_e32 v7, v5, v7
	v_subrev_u32_e32 v9, s18, v7
	v_cmp_le_u32_e32 vcc, s18, v7
	v_cndmask_b32_e32 v7, v7, v9, vcc
	v_cndmask_b32_e32 v4, v4, v8, vcc
	v_add_u32_e32 v8, 1, v4
	v_cmp_le_u32_e32 vcc, s18, v7
	v_cndmask_b32_e32 v7, v4, v8, vcc
	v_mov_b32_e32 v8, v3
.LBB0_6:                                ;   in Loop: Header=BB0_2 Depth=1
	s_or_b64 exec, exec, s[0:1]
	v_mul_lo_u32 v4, v8, s18
	v_mul_lo_u32 v11, v7, s19
	v_mad_u64_u32 v[9:10], s[0:1], v7, s18, 0
	s_load_dwordx2 s[0:1], s[6:7], 0x0
	s_add_u32 s16, s16, 1
	v_add3_u32 v4, v10, v11, v4
	v_sub_co_u32_e32 v5, vcc, v5, v9
	v_subb_co_u32_e32 v4, vcc, v6, v4, vcc
	s_waitcnt lgkmcnt(0)
	v_mul_lo_u32 v4, s0, v4
	v_mul_lo_u32 v6, s1, v5
	v_mad_u64_u32 v[1:2], s[0:1], s0, v5, v[1:2]
	s_addc_u32 s17, s17, 0
	s_add_u32 s6, s6, 8
	v_add3_u32 v2, v6, v2, v4
	v_mov_b32_e32 v4, s10
	v_mov_b32_e32 v5, s11
	s_addc_u32 s7, s7, 0
	v_cmp_ge_u64_e32 vcc, s[16:17], v[4:5]
	s_add_u32 s14, s14, 8
	s_addc_u32 s15, s15, 0
	s_cbranch_vccnz .LBB0_9
; %bb.7:                                ;   in Loop: Header=BB0_2 Depth=1
	v_mov_b32_e32 v5, v7
	v_mov_b32_e32 v6, v8
	s_branch .LBB0_2
.LBB0_8:
	v_mov_b32_e32 v8, v6
	v_mov_b32_e32 v7, v5
.LBB0_9:
	s_lshl_b64 s[0:1], s[10:11], 3
	s_add_u32 s0, s2, s0
	s_addc_u32 s1, s3, s1
	s_load_dwordx2 s[2:3], s[0:1], 0x0
	s_load_dwordx2 s[6:7], s[4:5], 0x20
                                        ; implicit-def: $vgpr6
                                        ; implicit-def: $vgpr23
                                        ; implicit-def: $vgpr11
                                        ; implicit-def: $vgpr26
                                        ; implicit-def: $vgpr12
                                        ; implicit-def: $vgpr27
                                        ; implicit-def: $vgpr13
                                        ; implicit-def: $vgpr28
                                        ; implicit-def: $vgpr14
                                        ; implicit-def: $vgpr29
                                        ; implicit-def: $vgpr15
                                        ; implicit-def: $vgpr30
                                        ; implicit-def: $vgpr16
                                        ; implicit-def: $vgpr31
                                        ; implicit-def: $vgpr17
                                        ; implicit-def: $vgpr32
                                        ; implicit-def: $vgpr18
                                        ; implicit-def: $vgpr33
                                        ; implicit-def: $vgpr19
                                        ; implicit-def: $vgpr34
                                        ; implicit-def: $vgpr20
                                        ; implicit-def: $vgpr39
                                        ; implicit-def: $vgpr21
                                        ; implicit-def: $vgpr38
                                        ; implicit-def: $vgpr22
                                        ; implicit-def: $vgpr37
                                        ; implicit-def: $vgpr24
                                        ; implicit-def: $vgpr36
                                        ; implicit-def: $vgpr25
                                        ; implicit-def: $vgpr35
	s_waitcnt lgkmcnt(0)
	v_mad_u64_u32 v[1:2], s[0:1], s2, v7, v[1:2]
	s_mov_b32 s0, 0x226b903
	v_mul_lo_u32 v3, s2, v8
	v_mul_lo_u32 v4, s3, v7
	v_mul_hi_u32 v5, v0, s0
	v_cmp_gt_u64_e32 vcc, s[6:7], v[7:8]
	s_movk_i32 s0, 0x54
	v_add3_u32 v2, v4, v2, v3
	v_mul_u32_u24_e32 v3, 0x77, v5
	v_sub_u32_e32 v7, v0, v3
	v_cmp_gt_u32_e64 s[0:1], s0, v7
	v_lshlrev_b64 v[9:10], 2, v[1:2]
	s_and_b64 s[2:3], vcc, s[0:1]
	v_mov_b32_e32 v4, 0
	v_mov_b32_e32 v0, 0
                                        ; implicit-def: $vgpr5
                                        ; implicit-def: $vgpr8
	s_and_saveexec_b64 s[4:5], s[2:3]
	s_cbranch_execz .LBB0_11
; %bb.10:
	v_mov_b32_e32 v8, 0
	v_mov_b32_e32 v0, s13
	v_add_co_u32_e64 v2, s[2:3], s12, v9
	v_addc_co_u32_e64 v3, s[2:3], v0, v10, s[2:3]
	v_lshlrev_b64 v[0:1], 2, v[7:8]
	v_add_co_u32_e64 v2, s[2:3], v2, v0
	v_addc_co_u32_e64 v3, s[2:3], v3, v1, s[2:3]
	s_movk_i32 s2, 0x1000
	v_add_co_u32_e64 v11, s[2:3], s2, v2
	global_load_dword v0, v[2:3], off
	global_load_dword v5, v[2:3], off offset:336
	global_load_dword v23, v[2:3], off offset:672
	global_load_dword v26, v[2:3], off offset:1008
	global_load_dword v27, v[2:3], off offset:1344
	global_load_dword v28, v[2:3], off offset:1680
	global_load_dword v29, v[2:3], off offset:2016
	global_load_dword v30, v[2:3], off offset:2352
	v_addc_co_u32_e64 v12, s[2:3], 0, v3, s[2:3]
	global_load_dword v31, v[2:3], off offset:2688
	global_load_dword v32, v[2:3], off offset:3024
	;; [unrolled: 1-line block ×9, first 2 shown]
	s_waitcnt vmcnt(16)
	v_lshrrev_b32_e32 v4, 16, v0
	s_waitcnt vmcnt(15)
	v_lshrrev_b32_e32 v6, 16, v5
	s_waitcnt vmcnt(14)
	v_lshrrev_b32_e32 v8, 16, v23
	s_waitcnt vmcnt(13)
	v_lshrrev_b32_e32 v11, 16, v26
	s_waitcnt vmcnt(12)
	v_lshrrev_b32_e32 v12, 16, v27
	s_waitcnt vmcnt(11)
	v_lshrrev_b32_e32 v13, 16, v28
	s_waitcnt vmcnt(10)
	v_lshrrev_b32_e32 v14, 16, v29
	s_waitcnt vmcnt(9)
	v_lshrrev_b32_e32 v15, 16, v30
	s_waitcnt vmcnt(8)
	v_lshrrev_b32_e32 v16, 16, v31
	s_waitcnt vmcnt(7)
	v_lshrrev_b32_e32 v17, 16, v32
	s_waitcnt vmcnt(6)
	v_lshrrev_b32_e32 v18, 16, v33
	s_waitcnt vmcnt(5)
	v_lshrrev_b32_e32 v19, 16, v34
	s_waitcnt vmcnt(4)
	v_lshrrev_b32_e32 v25, 16, v35
	s_waitcnt vmcnt(3)
	v_lshrrev_b32_e32 v24, 16, v36
	s_waitcnt vmcnt(2)
	v_lshrrev_b32_e32 v22, 16, v37
	s_waitcnt vmcnt(1)
	v_lshrrev_b32_e32 v21, 16, v38
	s_waitcnt vmcnt(0)
	v_lshrrev_b32_e32 v20, 16, v39
.LBB0_11:
	s_or_b64 exec, exec, s[4:5]
	v_sub_f16_e32 v1, v6, v20
	s_mov_b32 s17, 0xbbf7bbb2
	v_add_f16_e32 v46, v5, v39
	s_mov_b32 s4, 0x2de8b461
	v_pk_mul_f16 v54, v1, s17 op_sel_hi:[0,1]
	s_mov_b32 s18, 0xb1e13836
	v_sub_f16_e32 v3, v8, v21
	v_pk_fma_f16 v2, v46, s4, v54 op_sel_hi:[0,1,1] neg_lo:[0,0,1] neg_hi:[0,0,1]
	s_mov_b32 s5, 0xbbddbacd
	v_add_f16_e32 v47, v23, v38
	v_pk_mul_f16 v55, v3, s18 op_sel_hi:[0,1]
	v_pk_add_f16 v2, v0, v2 op_sel_hi:[0,1]
	v_pk_fma_f16 v40, v47, s5, v55 op_sel_hi:[0,1,1] neg_lo:[0,0,1] neg_hi:[0,0,1]
	v_pk_add_f16 v2, v2, v40
	s_mov_b32 s19, 0x3bb23964
	v_sub_f16_e32 v40, v11, v22
	s_mov_b32 s6, 0xb46139e9
	v_add_f16_e32 v48, v26, v37
	v_pk_mul_f16 v56, v40, s19 op_sel_hi:[0,1]
	v_pk_fma_f16 v41, v48, s6, v56 op_sel_hi:[0,1,1] neg_lo:[0,0,1] neg_hi:[0,0,1]
	v_pk_add_f16 v2, v2, v41
	s_mov_b32 s20, 0x35c8bb29
	v_sub_f16_e32 v41, v12, v24
	s_mov_b32 s7, 0x3b763722
	v_add_f16_e32 v49, v27, v36
	v_pk_mul_f16 v57, v41, s20 op_sel_hi:[0,1]
	;; [unrolled: 7-line block ×6, first 2 shown]
	v_pk_fma_f16 v62, v53, s15, v61 op_sel_hi:[0,1,1] neg_lo:[0,0,1] neg_hi:[0,0,1]
	s_mov_b32 s16, 0x5040100
	v_pk_add_f16 v2, v62, v2
	s_and_saveexec_b64 s[2:3], s[0:1]
	s_cbranch_execz .LBB0_13
; %bb.12:
	v_pk_mul_f16 v63, v46, s4 op_sel_hi:[0,1]
	v_pk_mul_f16 v66, v47, s5 op_sel_hi:[0,1]
	v_add_f16_e32 v73, v54, v63
	v_pk_mul_f16 v67, v48, s6 op_sel_hi:[0,1]
	v_add_f16_e32 v73, v0, v73
	v_add_f16_e32 v74, v55, v66
	v_pk_mul_f16 v68, v49, s7 op_sel_hi:[0,1]
	v_add_f16_e32 v73, v73, v74
	;; [unrolled: 3-line block ×6, first 2 shown]
	v_add_f16_e32 v74, v60, v71
	v_pack_b32_f16 v62, v46, v46
	v_add_f16_e32 v73, v74, v73
	v_add_f16_e32 v74, v61, v72
	s_mov_b32 s25, 0x39e93b76
	v_pack_b32_f16 v64, v1, v1
	v_add_f16_e32 v73, v74, v73
	v_pk_mul_f16 v74, v62, s25
	s_mov_b32 s25, 0xb964b5c8
	s_mov_b32 s27, 0x2de839e9
	v_pack_b32_f16 v76, v47, v47
	v_perm_b32 v65, v0, v0, s16
	s_mov_b32 s26, 0xbbf7b964
	v_pk_fma_f16 v75, v64, s25, v74
	v_pack_b32_f16 v77, v3, v3
	v_pk_mul_f16 v78, v76, s27
	v_pk_add_f16 v75, v65, v75
	v_pk_fma_f16 v79, v77, s26, v78
	v_pk_add_f16 v75, v75, v79
	s_mov_b32 s27, 0xb8d23722
	v_pack_b32_f16 v79, v48, v48
	s_mov_b32 s28, 0xba62bb29
	v_pack_b32_f16 v80, v40, v40
	v_pk_mul_f16 v81, v79, s27
	v_pk_fma_f16 v82, v80, s28, v81
	v_pk_add_f16 v75, v75, v82
	s_mov_b32 s27, 0xbbdd2de8
	v_pack_b32_f16 v82, v49, v49
	s_mov_b32 s29, 0xb1e1bbf7
	v_pack_b32_f16 v83, v41, v41
	v_pk_mul_f16 v84, v82, s27
	;; [unrolled: 7-line block ×6, first 2 shown]
	v_pk_fma_f16 v97, v95, s34, v96
	v_pk_add_f16 v75, v97, v75
	s_mov_b32 s27, 0xffff
	v_mul_f16_e32 v97, 0xbb29, v1
	v_mul_f16_e32 v98, 0x3722, v46
	v_bfi_b32 v54, s27, v97, v54
	v_bfi_b32 v63, s27, v98, v63
	v_pk_add_f16 v54, v54, v63
	v_mul_f16_e32 v63, 0xba62, v3
	v_mul_f16_e32 v99, 0xb8d2, v47
	v_bfi_b32 v55, s27, v63, v55
	v_bfi_b32 v66, s27, v99, v66
	v_pk_add_f16 v55, v55, v66
	v_pk_add_f16 v54, v65, v54
	v_mul_f16_e32 v66, 0x31e1, v40
	v_mul_f16_e32 v100, 0xbbdd, v48
	v_pk_add_f16 v54, v54, v55
	v_bfi_b32 v55, s27, v66, v56
	v_bfi_b32 v56, s27, v100, v67
	v_pk_add_f16 v55, v55, v56
	v_mul_f16_e32 v67, 0x3bb2, v41
	v_mul_f16_e32 v101, 0xb461, v49
	v_pk_add_f16 v54, v54, v55
	v_bfi_b32 v55, s27, v67, v57
	v_bfi_b32 v56, s27, v101, v68
	v_pk_add_f16 v55, v55, v56
	v_mul_f16_e32 v68, 0x3964, v42
	v_pk_add_f16 v54, v54, v55
	v_bfi_b32 v55, s27, v68, v58
	v_mul_f16_e32 v58, 0x39e9, v50
	v_bfi_b32 v56, s27, v58, v69
	v_pk_add_f16 v55, v55, v56
	v_mul_f16_e32 v69, 0xb5c8, v43
	v_pk_add_f16 v54, v54, v55
	v_bfi_b32 v55, s27, v69, v59
	v_mul_f16_e32 v59, 0x3b76, v51
	;; [unrolled: 6-line block ×4, first 2 shown]
	v_bfi_b32 v56, s27, v61, v72
	s_mov_b32 s35, 0xbacdb8d2
	v_pk_add_f16 v55, v55, v56
	v_pk_mul_f16 v62, v62, s35
	s_mov_b32 s35, 0xb836ba62
	s_mov_b32 s36, 0x3722b461
	v_pk_add_f16 v54, v55, v54
	v_pk_mul_f16 v72, v76, s36
	s_mov_b32 s36, 0x3b293bb2
	v_pk_fma_f16 v55, v64, s35, v62
	s_mov_b32 s37, 0x2de83b76
	v_pk_add_f16 v55, v65, v55
	v_pk_fma_f16 v56, v77, s36, v72
	v_pk_mul_f16 v76, v79, s37
	s_mov_b32 s37, 0xbbf7b5c8
	s_mov_b32 s38, 0xb8d2bacd
	v_pk_add_f16 v55, v55, v56
	v_pk_fma_f16 v56, v80, s37, v76
	v_pk_mul_f16 v79, v82, s38
	s_mov_b32 s38, 0x3a62b836
	;; [unrolled: 5-line block ×6, first 2 shown]
	v_pk_add_f16 v55, v56, v55
	v_pk_fma_f16 v56, v95, s42, v91
	v_pk_add_f16 v57, v56, v55
	v_alignbit_b32 v56, v73, v54, 16
	v_alignbit_b32 v55, v54, v75, 16
	v_add_f16_e32 v54, v0, v5
	v_add_f16_e32 v54, v54, v23
	;; [unrolled: 1-line block ×16, first 2 shown]
	v_pack_b32_f16 v54, v54, v75
	v_mad_u32_u24 v73, v7, 34, 0
	v_mul_f16_e32 v46, 0xbbdd, v46
	s_mov_b32 s43, 0xb1e1
	ds_write_b128 v73, v[54:57]
	v_mul_f16_e32 v47, 0x3b76, v47
	s_movk_i32 s44, 0x35c8
	v_fma_f16 v54, v1, s43, v46
	v_add_f16_e32 v54, v0, v54
	v_fma_f16 v55, v3, s44, v47
	v_mul_f16_e32 v48, 0xbacd, v48
	s_mov_b32 s43, 0xb836
	v_add_f16_e32 v54, v54, v55
	v_fma_f16 v55, v40, s43, v48
	v_mul_f16_e32 v49, 0x39e9, v49
	s_movk_i32 s43, 0x3964
	v_add_f16_e32 v54, v54, v55
	v_fma_f16 v55, v41, s43, v49
	v_mul_f16_e32 v50, 0xb8d2, v50
	s_mov_b32 s43, 0xba62
	v_add_f16_e32 v54, v54, v55
	v_fma_f16 v55, v42, s43, v50
	v_mul_f16_e32 v51, 0x3722, v51
	s_movk_i32 s43, 0x3b29
	;; [unrolled: 8-line block ×3, first 2 shown]
	v_add_f16_e32 v54, v55, v54
	v_fma_f16 v55, v45, s43, v53
	v_add_f16_e32 v54, v55, v54
	v_pk_mul_f16 v55, v64, s35
	v_sub_f16_e32 v56, v62, v55
	v_pk_mul_f16 v57, v77, s36
	v_add_f16_e32 v56, v0, v56
	v_sub_f16_e32 v75, v72, v57
	v_add_f16_e32 v56, v56, v75
	v_pk_mul_f16 v75, v80, s37
	v_sub_f16_e32 v94, v76, v75
	v_add_f16_e32 v56, v56, v94
	v_pk_mul_f16 v94, v83, s38
	;; [unrolled: 3-line block ×6, first 2 shown]
	v_sub_f16_e32 v106, v91, v105
	v_pk_mul_f16 v64, v64, s25
	v_add_f16_e32 v56, v106, v56
	v_sub_f16_e32 v106, v74, v64
	v_pk_mul_f16 v77, v77, s26
	v_add_f16_e32 v0, v0, v106
	;; [unrolled: 3-line block ×8, first 2 shown]
	v_sub_f16_e32 v106, v96, v95
	v_mul_f16_e32 v1, 0xb1e1, v1
	v_add_f16_e32 v106, v106, v0
	v_bfi_b32 v0, s27, v46, v62
	v_bfi_b32 v1, s27, v1, v55
	v_mul_f16_e32 v3, 0x35c8, v3
	v_pk_add_f16 v0, v0, v1 neg_lo:[0,1] neg_hi:[0,1]
	v_bfi_b32 v1, s27, v47, v72
	v_bfi_b32 v3, s27, v3, v57
	v_pk_add_f16 v1, v1, v3 neg_lo:[0,1] neg_hi:[0,1]
	v_pk_add_f16 v0, v65, v0
	v_mul_f16_e32 v3, 0xb836, v40
	v_pk_add_f16 v0, v0, v1
	v_bfi_b32 v1, s27, v48, v76
	v_bfi_b32 v3, s27, v3, v75
	v_pk_add_f16 v1, v1, v3 neg_lo:[0,1] neg_hi:[0,1]
	v_mul_f16_e32 v3, 0x3964, v41
	v_pk_add_f16 v0, v0, v1
	v_bfi_b32 v1, s27, v49, v79
	v_bfi_b32 v3, s27, v3, v94
	v_pk_add_f16 v1, v1, v3 neg_lo:[0,1] neg_hi:[0,1]
	;; [unrolled: 5-line block ×6, first 2 shown]
	v_pk_add_f16 v0, v1, v0
	v_bfi_b32 v1, s27, v98, v74
	v_bfi_b32 v3, s27, v97, v64
	v_pk_add_f16 v1, v1, v3 neg_lo:[0,1] neg_hi:[0,1]
	v_bfi_b32 v3, s27, v99, v78
	v_bfi_b32 v40, s27, v63, v77
	v_pk_add_f16 v1, v65, v1
	v_pk_add_f16 v3, v3, v40 neg_lo:[0,1] neg_hi:[0,1]
	v_pk_add_f16 v1, v1, v3
	v_bfi_b32 v3, s27, v100, v81
	v_bfi_b32 v40, s27, v66, v80
	v_pk_add_f16 v3, v3, v40 neg_lo:[0,1] neg_hi:[0,1]
	v_pk_add_f16 v1, v1, v3
	v_bfi_b32 v3, s27, v101, v84
	v_bfi_b32 v40, s27, v67, v83
	v_pk_add_f16 v3, v3, v40 neg_lo:[0,1] neg_hi:[0,1]
	v_pk_add_f16 v1, v1, v3
	v_bfi_b32 v3, s27, v58, v87
	v_bfi_b32 v40, s27, v68, v86
	v_pk_add_f16 v3, v3, v40 neg_lo:[0,1] neg_hi:[0,1]
	v_pk_add_f16 v1, v1, v3
	v_bfi_b32 v3, s27, v59, v90
	v_bfi_b32 v40, s27, v69, v89
	v_pk_add_f16 v3, v3, v40 neg_lo:[0,1] neg_hi:[0,1]
	v_pk_add_f16 v1, v3, v1
	v_bfi_b32 v3, s27, v60, v93
	v_bfi_b32 v40, s27, v70, v92
	v_pk_add_f16 v3, v3, v40 neg_lo:[0,1] neg_hi:[0,1]
	v_pk_add_f16 v1, v3, v1
	v_bfi_b32 v3, s27, v61, v96
	v_bfi_b32 v40, s27, v71, v95
	v_pk_add_f16 v3, v3, v40 neg_lo:[0,1] neg_hi:[0,1]
	v_pk_add_f16 v3, v3, v1
	v_alignbit_b32 v1, v56, v0, 16
	v_pack_b32_f16 v0, v54, v0
	ds_write_b128 v73, v[0:3] offset:16
	ds_write_b16 v73, v106 offset:32
.LBB0_13:
	s_or_b64 exec, exec, s[2:3]
	v_sub_f16_e32 v58, v5, v39
	v_add_f16_e32 v57, v6, v20
	v_sub_f16_e32 v56, v23, v38
	v_pk_mul_f16 v44, v58, s17 op_sel_hi:[0,1]
	v_add_f16_e32 v55, v8, v21
	v_sub_f16_e32 v54, v26, v37
	v_pk_fma_f16 v0, v57, s4, v44 op_sel_hi:[0,1,1]
	v_pk_mul_f16 v43, v56, s18 op_sel_hi:[0,1]
	v_add_f16_e32 v53, v11, v22
	v_sub_f16_e32 v52, v27, v36
	v_pk_add_f16 v0, v4, v0 op_sel_hi:[0,1]
	v_pk_fma_f16 v5, v55, s5, v43 op_sel_hi:[0,1,1]
	v_pk_mul_f16 v42, v54, s19 op_sel_hi:[0,1]
	v_add_f16_e32 v51, v12, v24
	v_sub_f16_e32 v50, v28, v35
	v_pk_add_f16 v0, v0, v5
	v_pk_fma_f16 v5, v53, s6, v42 op_sel_hi:[0,1,1]
	v_pk_mul_f16 v41, v52, s20 op_sel_hi:[0,1]
	v_add_f16_e32 v49, v13, v25
	v_sub_f16_e32 v48, v29, v34
	v_pk_add_f16 v0, v0, v5
	;; [unrolled: 5-line block ×3, first 2 shown]
	v_pk_fma_f16 v5, v49, s10, v40 op_sel_hi:[0,1,1]
	v_pk_mul_f16 v39, v48, s22 op_sel_hi:[0,1]
	v_add_f16_e32 v45, v15, v18
	v_pk_add_f16 v0, v0, v5
	v_pk_fma_f16 v5, v47, s11, v39 op_sel_hi:[0,1,1]
	v_pk_mul_f16 v38, v46, s23 op_sel_hi:[0,1]
	v_pk_add_f16 v0, v5, v0
	v_pk_fma_f16 v5, v45, s14, v38 op_sel_hi:[0,1,1]
	v_pk_add_f16 v5, v5, v0
	v_lshl_add_u32 v0, v7, 1, 0
	v_sub_f16_e32 v3, v31, v32
	s_waitcnt lgkmcnt(0)
	s_barrier
	ds_read_u16 v23, v0 offset:1666
	ds_read_u16 v31, v0
	ds_read_u16 v32, v0 offset:238
	ds_read_u16 v33, v0 offset:476
	;; [unrolled: 1-line block ×10, first 2 shown]
	v_add_f16_e32 v1, v16, v17
	v_pk_mul_f16 v37, v3, s24 op_sel_hi:[0,1]
	v_pk_fma_f16 v59, v1, s15, v37 op_sel_hi:[0,1,1]
	v_pk_add_f16 v5, v59, v5
	s_waitcnt lgkmcnt(0)
	s_barrier
	s_and_saveexec_b64 s[2:3], s[0:1]
	s_cbranch_execz .LBB0_15
; %bb.14:
	v_add_f16_e32 v6, v4, v6
	v_add_f16_e32 v6, v6, v8
	;; [unrolled: 1-line block ×15, first 2 shown]
	s_mov_b32 s1, 0xbbdd
	v_mul_f16_e32 v15, 0xb1e1, v58
	v_pk_mul_f16 v76, v57, s4 op_sel_hi:[0,1]
	v_add_f16_e32 v8, v20, v6
	v_fma_f16 v6, v57, s1, -v15
	s_movk_i32 s4, 0x3b76
	v_mul_f16_e32 v18, 0x35c8, v56
	v_add_f16_e32 v6, v4, v6
	v_fma_f16 v19, v55, s4, -v18
	s_mov_b32 s4, 0xbacd
	v_mul_f16_e32 v22, 0xb836, v54
	v_pack_b32_f16 v67, v52, v52
	v_pk_mul_f16 v77, v55, s5 op_sel_hi:[0,1]
	v_add_f16_e32 v6, v6, v19
	v_fma_f16 v24, v53, s4, -v22
	v_mul_f16_e32 v25, 0x3bb2, v52
	s_movk_i32 s5, 0x39e9
	v_mul_f16_e32 v52, 0x3964, v52
	v_pack_b32_f16 v64, v53, v53
	v_pack_b32_f16 v65, v54, v54
	v_pack_b32_f16 v66, v51, v51
	v_pack_b32_f16 v69, v50, v50
	v_pk_mul_f16 v78, v53, s6 op_sel_hi:[0,1]
	v_pk_mul_f16 v79, v51, s7 op_sel_hi:[0,1]
	s_mov_b32 s1, 0xb8d2
	v_mul_f16_e32 v19, 0xbbdd, v53
	v_mul_f16_e32 v20, 0x31e1, v54
	;; [unrolled: 1-line block ×3, first 2 shown]
	v_add_f16_e32 v6, v6, v24
	v_mul_f16_e32 v24, 0xb461, v51
	v_mul_f16_e32 v53, 0x39e9, v51
	v_fma_f16 v51, v51, s5, -v52
	v_mul_f16_e32 v54, 0x3964, v50
	v_mul_f16_e32 v50, 0xba62, v50
	v_pack_b32_f16 v62, v55, v55
	v_pack_b32_f16 v63, v56, v56
	;; [unrolled: 1-line block ×4, first 2 shown]
	v_pk_mul_f16 v80, v49, s10 op_sel_hi:[0,1]
	s_movk_i32 s0, 0x3722
	v_mul_f16_e32 v14, 0xb8d2, v55
	v_mul_f16_e32 v16, 0xba62, v56
	;; [unrolled: 1-line block ×3, first 2 shown]
	v_add_f16_e32 v6, v6, v51
	v_mul_f16_e32 v51, 0x39e9, v49
	v_mul_f16_e32 v55, 0xb8d2, v49
	v_fma_f16 v49, v49, s1, -v50
	v_mul_f16_e32 v56, 0xb5c8, v48
	v_mul_f16_e32 v48, 0x3b29, v48
	v_pack_b32_f16 v59, v57, v57
	v_pack_b32_f16 v60, v58, v58
	v_pack_b32_f16 v70, v47, v47
	v_pack_b32_f16 v73, v46, v46
	v_pk_mul_f16 v81, v47, s11 op_sel_hi:[0,1]
	v_mul_f16_e32 v11, 0x3722, v57
	v_mul_f16_e32 v12, 0xbb29, v58
	;; [unrolled: 1-line block ×3, first 2 shown]
	s_mov_b32 s4, 0xb461
	v_add_f16_e32 v6, v6, v49
	v_mul_f16_e32 v49, 0x3b76, v47
	v_mul_f16_e32 v57, 0x3722, v47
	v_fma_f16 v47, v47, s0, -v48
	v_mul_f16_e32 v58, 0xbbf7, v46
	v_mul_f16_e32 v46, 0xbbb2, v46
	v_pack_b32_f16 v72, v45, v45
	v_pk_mul_f16 v82, v45, s14 op_sel_hi:[0,1]
	v_add_f16_e32 v6, v47, v6
	v_mul_f16_e32 v47, 0x2de8, v45
	v_mul_f16_e32 v84, 0xb461, v45
	v_fma_f16 v45, v45, s4, -v46
	s_mov_b32 s4, 0xb964b5c8
	s_mov_b32 s1, 0x39e93b76
	v_pk_mul_f16 v85, v60, s4
	v_add_f16_e32 v45, v45, v6
	v_pk_mul_f16 v6, v59, s1
	v_pk_fma_f16 v87, v59, s1, v85 neg_lo:[0,0,1] neg_hi:[0,0,1]
	s_mov_b32 s1, 0x2de839e9
	s_mov_b32 s4, 0xbbf7b964
	v_add_f16_e32 v86, v6, v85
	v_pk_mul_f16 v88, v62, s1
	v_pk_mul_f16 v89, v63, s4
	v_perm_b32 v61, v4, v4, s16
	v_add_f16_e32 v86, v4, v86
	v_add_f16_e32 v90, v88, v89
	v_pk_add_f16 v87, v61, v87
	v_add_f16_e32 v86, v86, v90
	v_pk_fma_f16 v90, v62, s1, v89 neg_lo:[0,0,1] neg_hi:[0,0,1]
	s_mov_b32 s1, 0xb8d23722
	s_mov_b32 s4, 0xba62bb29
	v_pk_add_f16 v87, v87, v90
	v_pk_mul_f16 v90, v64, s1
	v_pk_mul_f16 v91, v65, s4
	v_add_f16_e32 v92, v90, v91
	v_add_f16_e32 v86, v86, v92
	v_pk_fma_f16 v92, v64, s1, v91 neg_lo:[0,0,1] neg_hi:[0,0,1]
	s_mov_b32 s1, 0xbbdd2de8
	s_mov_b32 s4, 0xb1e1bbf7
	v_pk_add_f16 v87, v87, v92
	v_pk_mul_f16 v92, v66, s1
	v_pk_mul_f16 v93, v67, s4
	v_add_f16_e32 v94, v92, v93
	;; [unrolled: 8-line block ×4, first 2 shown]
	v_add_f16_e32 v86, v98, v86
	v_pk_fma_f16 v98, v70, s1, v97 neg_lo:[0,0,1] neg_hi:[0,0,1]
	s_mov_b32 s1, 0x3722bacd
	s_mov_b32 s4, 0x3b29b836
	v_pk_add_f16 v87, v98, v87
	v_pk_mul_f16 v98, v72, s1
	v_pk_mul_f16 v99, v73, s4
	v_pack_b32_f16 v75, v3, v3
	v_add_f16_e32 v100, v98, v99
	s_mov_b32 s4, 0x35c8b1e1
	v_pack_b32_f16 v74, v1, v1
	v_add_f16_e32 v86, v100, v86
	v_pk_fma_f16 v100, v72, s1, v99 neg_lo:[0,0,1] neg_hi:[0,0,1]
	s_mov_b32 s1, 0x3b76bbdd
	v_pk_mul_f16 v101, v75, s4
	v_pk_add_f16 v87, v100, v87
	v_pk_mul_f16 v100, v74, s1
	v_pk_fma_f16 v102, v74, s1, v101 neg_lo:[0,0,1] neg_hi:[0,0,1]
	s_mov_b32 s1, 0xffff
	v_bfi_b32 v6, s1, v11, v6
	v_bfi_b32 v85, s1, v12, v85
	v_pk_add_f16 v6, v6, v85
	v_bfi_b32 v85, s1, v14, v88
	v_bfi_b32 v88, s1, v16, v89
	;; [unrolled: 1-line block ×4, first 2 shown]
	v_pk_add_f16 v6, v61, v6
	v_pk_add_f16 v85, v85, v88
	v_pk_add_f16 v11, v11, v12 neg_lo:[0,1] neg_hi:[0,1]
	v_bfi_b32 v12, s1, v14, v77
	v_bfi_b32 v14, s1, v16, v43
	v_pk_add_f16 v6, v6, v85
	v_bfi_b32 v85, s1, v19, v90
	v_bfi_b32 v88, s1, v20, v91
	v_pk_add_f16 v11, v61, v11
	v_pk_add_f16 v12, v12, v14 neg_lo:[0,1] neg_hi:[0,1]
	v_pk_add_f16 v85, v85, v88
	v_pk_add_f16 v11, v11, v12
	v_bfi_b32 v12, s1, v19, v78
	v_bfi_b32 v14, s1, v20, v42
	v_pk_add_f16 v6, v6, v85
	v_bfi_b32 v85, s1, v24, v92
	v_bfi_b32 v88, s1, v25, v93
	v_pk_add_f16 v12, v12, v14 neg_lo:[0,1] neg_hi:[0,1]
	v_pk_add_f16 v85, v85, v88
	v_pk_add_f16 v11, v11, v12
	v_bfi_b32 v12, s1, v24, v79
	v_bfi_b32 v14, s1, v25, v41
	v_pk_add_f16 v6, v6, v85
	v_bfi_b32 v85, s1, v51, v94
	v_bfi_b32 v88, s1, v54, v95
	;; [unrolled: 8-line block ×3, first 2 shown]
	v_pk_add_f16 v12, v12, v14 neg_lo:[0,1] neg_hi:[0,1]
	v_pk_add_f16 v85, v85, v88
	v_pk_add_f16 v11, v11, v12
	v_bfi_b32 v12, s1, v49, v81
	v_bfi_b32 v14, s1, v56, v39
	v_add_f16_e32 v103, v100, v101
	v_pk_add_f16 v6, v85, v6
	v_bfi_b32 v85, s1, v47, v98
	v_bfi_b32 v88, s1, v58, v99
	v_pk_add_f16 v12, v12, v14 neg_lo:[0,1] neg_hi:[0,1]
	v_add_f16_e32 v86, v103, v86
	v_pk_add_f16 v87, v102, v87
	v_mul_f16_e32 v102, 0xbacd, v1
	v_mul_f16_e32 v103, 0xb836, v3
	v_pk_add_f16 v85, v85, v88
	v_pk_add_f16 v11, v12, v11
	v_bfi_b32 v12, s1, v47, v82
	v_bfi_b32 v14, s1, v58, v38
	v_pk_mul_f16 v83, v1, s15 op_sel_hi:[0,1]
	v_pk_add_f16 v6, v85, v6
	v_bfi_b32 v85, s1, v102, v100
	v_bfi_b32 v88, s1, v103, v101
	v_pk_add_f16 v12, v12, v14 neg_lo:[0,1] neg_hi:[0,1]
	s_mov_b32 s4, 0xbacdb8d2
	s_mov_b32 s5, 0xb836ba62
	v_pk_add_f16 v85, v85, v88
	v_pk_add_f16 v11, v12, v11
	v_bfi_b32 v12, s1, v102, v83
	v_bfi_b32 v14, s1, v103, v37
	v_pk_mul_f16 v16, v59, s4
	v_pk_mul_f16 v19, v60, s5
	v_pk_add_f16 v6, v85, v6
	v_sub_f16_e32 v85, v76, v44
	v_pk_add_f16 v12, v12, v14 neg_lo:[0,1] neg_hi:[0,1]
	v_add_f16_e32 v14, v16, v19
	v_add_f16_e32 v85, v4, v85
	v_sub_f16_e32 v88, v77, v43
	v_add_f16_e32 v4, v4, v14
	v_pk_fma_f16 v14, v59, s4, v19 neg_lo:[0,0,1] neg_hi:[0,0,1]
	s_mov_b32 s4, 0x3722b461
	s_mov_b32 s5, 0x3b293bb2
	v_add_f16_e32 v85, v85, v88
	v_sub_f16_e32 v88, v78, v42
	v_pk_mul_f16 v20, v62, s4
	v_pk_mul_f16 v24, v63, s5
	v_add_f16_e32 v85, v85, v88
	v_sub_f16_e32 v88, v79, v41
	v_add_f16_e32 v25, v20, v24
	v_add_f16_e32 v85, v85, v88
	v_sub_f16_e32 v88, v80, v40
	v_pk_add_f16 v14, v61, v14
	v_add_f16_e32 v4, v4, v25
	v_pk_fma_f16 v25, v62, s4, v24 neg_lo:[0,0,1] neg_hi:[0,0,1]
	s_mov_b32 s4, 0x2de83b76
	s_mov_b32 s5, 0xbbf7b5c8
	v_add_f16_e32 v85, v85, v88
	v_sub_f16_e32 v88, v81, v39
	v_pk_add_f16 v11, v12, v11
	v_sub_f16_e32 v12, v83, v37
	v_pk_add_f16 v14, v14, v25
	v_pk_mul_f16 v25, v64, s4
	v_pk_mul_f16 v37, v65, s5
	v_add_f16_e32 v85, v88, v85
	v_sub_f16_e32 v88, v82, v38
	v_add_f16_e32 v38, v25, v37
	v_add_f16_e32 v4, v4, v38
	v_pk_fma_f16 v38, v64, s4, v37 neg_lo:[0,0,1] neg_hi:[0,0,1]
	s_mov_b32 s4, 0xb8d2bacd
	s_mov_b32 s5, 0x3a62b836
	v_pk_add_f16 v14, v14, v38
	v_pk_mul_f16 v38, v66, s4
	v_pk_mul_f16 v39, v67, s5
	v_add_f16_e32 v40, v38, v39
	v_bfi_b32 v13, s1, v13, v16
	v_bfi_b32 v15, s1, v15, v19
	v_add_f16_e32 v4, v4, v40
	v_pk_fma_f16 v40, v66, s4, v39 neg_lo:[0,0,1] neg_hi:[0,0,1]
	s_mov_b32 s4, 0x3b762de8
	s_mov_b32 s5, 0xb5c83bf7
	v_pk_add_f16 v13, v13, v15
	v_bfi_b32 v15, s1, v17, v20
	v_bfi_b32 v16, s1, v18, v24
	v_pk_add_f16 v14, v14, v40
	v_pk_mul_f16 v40, v68, s4
	v_pk_mul_f16 v41, v69, s5
	v_pk_add_f16 v13, v61, v13
	v_pk_add_f16 v15, v15, v16
	v_add_f16_e32 v42, v40, v41
	v_pk_add_f16 v13, v13, v15
	v_bfi_b32 v15, s1, v21, v25
	v_bfi_b32 v16, s1, v22, v37
	v_add_f16_e32 v4, v4, v42
	v_pk_fma_f16 v42, v68, s4, v41 neg_lo:[0,0,1] neg_hi:[0,0,1]
	s_mov_b32 s4, 0xbbdd39e9
	s_mov_b32 s5, 0xb1e1b964
	v_pk_add_f16 v15, v15, v16
	v_pk_add_f16 v14, v14, v42
	v_pk_mul_f16 v42, v70, s4
	v_pk_mul_f16 v43, v71, s5
	v_pk_add_f16 v13, v13, v15
	v_bfi_b32 v15, s1, v53, v38
	v_bfi_b32 v16, s1, v52, v39
	v_add_f16_e32 v44, v42, v43
	v_pk_add_f16 v15, v15, v16
	v_add_f16_e32 v4, v44, v4
	v_pk_fma_f16 v44, v70, s4, v43 neg_lo:[0,0,1] neg_hi:[0,0,1]
	s_mov_b32 s4, 0x39e9bbdd
	s_mov_b32 s5, 0x3964b1e1
	v_pk_add_f16 v13, v13, v15
	v_bfi_b32 v15, s1, v55, v40
	v_bfi_b32 v16, s1, v50, v41
	v_pk_add_f16 v14, v44, v14
	v_pk_mul_f16 v44, v72, s4
	v_pk_mul_f16 v47, v73, s5
	v_pk_add_f16 v15, v15, v16
	v_add_f16_e32 v49, v44, v47
	s_mov_b32 s5, 0xbbb23b29
	v_pk_add_f16 v13, v13, v15
	v_bfi_b32 v15, s1, v57, v42
	v_bfi_b32 v16, s1, v48, v43
	v_add_f16_e32 v4, v49, v4
	v_pk_fma_f16 v49, v72, s4, v47 neg_lo:[0,0,1] neg_hi:[0,0,1]
	s_mov_b32 s4, 0xb4613722
	v_pk_mul_f16 v51, v75, s5
	v_pk_add_f16 v15, v15, v16
	v_pk_add_f16 v14, v49, v14
	v_pk_fma_f16 v54, v74, s4, v51 neg_lo:[0,0,1] neg_hi:[0,0,1]
	v_pk_add_f16 v13, v15, v13
	v_bfi_b32 v15, s1, v84, v44
	v_bfi_b32 v16, s1, v46, v47
	s_movk_i32 s0, 0x2de8
	v_pk_mul_f16 v49, v74, s4
	v_pk_add_f16 v14, v54, v14
	v_mul_f16_e32 v54, 0x2de8, v1
	v_mul_f16_e32 v3, 0x3bf7, v3
	v_pk_add_f16 v15, v15, v16
	v_fma_f16 v1, v1, s0, -v3
	v_pk_add_f16 v13, v15, v13
	v_bfi_b32 v15, s1, v54, v49
	v_bfi_b32 v3, s1, v3, v51
	v_add_f16_e32 v85, v88, v85
	v_add_f16_e32 v56, v49, v51
	v_pk_add_f16 v3, v15, v3
	v_add_f16_e32 v12, v12, v85
	v_add_f16_e32 v4, v56, v4
	;; [unrolled: 1-line block ×3, first 2 shown]
	v_pk_add_f16 v3, v3, v13
	v_lshl_add_u32 v15, v7, 5, v0
	v_alignbit_b32 v13, v12, v11, 16
	v_alignbit_b32 v12, v11, v87, 16
	v_pack_b32_f16 v11, v8, v87
	v_alignbit_b32 v4, v4, v3, 16
	v_pack_b32_f16 v3, v1, v3
	ds_write_b128 v15, v[11:14]
	ds_write_b128 v15, v[3:6] offset:16
	ds_write_b16 v15, v86 offset:32
.LBB0_15:
	s_or_b64 exec, exec, s[2:3]
	v_add_u32_e32 v1, 0x77, v7
	s_movk_i32 s0, 0xf1
	v_mul_lo_u16_sdwa v15, v1, s0 dst_sel:DWORD dst_unused:UNUSED_PAD src0_sel:BYTE_0 src1_sel:DWORD
	v_lshrrev_b16_e32 v17, 12, v15
	v_add_u32_e32 v3, 0xee, v7
	v_mul_lo_u16_sdwa v11, v7, s0 dst_sel:DWORD dst_unused:UNUSED_PAD src0_sel:BYTE_0 src1_sel:DWORD
	v_mul_lo_u16_e32 v15, 17, v17
	s_mov_b32 s0, 0xf0f1
	v_sub_u16_e32 v18, v1, v15
	v_mul_u32_u24_sdwa v15, v3, s0 dst_sel:DWORD dst_unused:UNUSED_PAD src0_sel:WORD_0 src1_sel:DWORD
	v_lshrrev_b32_e32 v19, 20, v15
	v_add_u32_e32 v4, 0x165, v7
	v_mul_lo_u16_e32 v15, 17, v19
	v_sub_u16_e32 v20, v3, v15
	v_mul_u32_u24_sdwa v3, v4, s0 dst_sel:DWORD dst_unused:UNUSED_PAD src0_sel:WORD_0 src1_sel:DWORD
	v_lshrrev_b32_e32 v21, 20, v3
	v_add_u32_e32 v6, 0x1dc, v7
	v_mul_lo_u16_e32 v3, 17, v21
	;; [unrolled: 5-line block ×3, first 2 shown]
	v_lshrrev_b16_e32 v12, 12, v11
	v_sub_u16_e32 v51, v6, v3
	v_mul_u32_u24_sdwa v3, v8, s0 dst_sel:DWORD dst_unused:UNUSED_PAD src0_sel:WORD_0 src1_sel:DWORD
	v_mul_lo_u16_e32 v11, 17, v12
	v_lshrrev_b32_e32 v52, 20, v3
	v_sub_u16_e32 v13, v7, v11
	v_mov_b32_e32 v11, 2
	v_mul_lo_u16_e32 v3, 17, v52
	v_lshlrev_b32_sdwa v14, v11, v13 dst_sel:DWORD dst_unused:UNUSED_PAD src0_sel:DWORD src1_sel:BYTE_0
	v_sub_u16_e32 v53, v8, v3
	s_waitcnt lgkmcnt(0)
	s_barrier
	v_lshlrev_b32_sdwa v11, v11, v18 dst_sel:DWORD dst_unused:UNUSED_PAD src0_sel:DWORD src1_sel:BYTE_0
	v_lshlrev_b32_e32 v15, 2, v20
	v_lshlrev_b32_e32 v4, 2, v22
	;; [unrolled: 1-line block ×4, first 2 shown]
	global_load_dword v41, v14, s[8:9]
	global_load_dword v39, v11, s[8:9]
	global_load_dword v37, v15, s[8:9]
	global_load_dword v24, v4, s[8:9]
	global_load_dword v6, v16, s[8:9]
	global_load_dword v3, v8, s[8:9]
	v_mov_b32_e32 v54, 1
	v_mul_u32_u24_e32 v4, 0x44, v12
	v_lshlrev_b32_sdwa v12, v54, v13 dst_sel:DWORD dst_unused:UNUSED_PAD src0_sel:DWORD src1_sel:BYTE_0
	ds_read_u16 v43, v0 offset:1666
	ds_read_u16 v42, v0
	ds_read_u16 v40, v0 offset:238
	ds_read_u16 v38, v0 offset:476
	;; [unrolled: 1-line block ×10, first 2 shown]
	v_add3_u32 v49, 0, v4, v12
	v_mul_u32_u24_e32 v17, 0x44, v17
	v_lshlrev_b32_sdwa v18, v54, v18 dst_sel:DWORD dst_unused:UNUSED_PAD src0_sel:DWORD src1_sel:BYTE_0
	s_waitcnt vmcnt(0) lgkmcnt(0)
	s_barrier
	s_movk_i32 s0, 0x55
	v_cmp_gt_u32_e64 s[0:1], s0, v7
	v_mul_f16_sdwa v4, v48, v41 dst_sel:DWORD dst_unused:UNUSED_PAD src0_sel:DWORD src1_sel:WORD_1
	v_mul_f16_sdwa v12, v43, v39 dst_sel:DWORD dst_unused:UNUSED_PAD src0_sel:DWORD src1_sel:WORD_1
	v_fma_f16 v4, v30, v41, v4
	v_fma_f16 v12, v23, v39, v12
	v_sub_f16_e32 v55, v31, v4
	v_mul_f16_sdwa v13, v47, v37 dst_sel:DWORD dst_unused:UNUSED_PAD src0_sel:DWORD src1_sel:WORD_1
	v_sub_f16_e32 v12, v32, v12
	v_fma_f16 v31, v31, 2.0, -v55
	v_mul_f16_sdwa v14, v46, v24 dst_sel:DWORD dst_unused:UNUSED_PAD src0_sel:DWORD src1_sel:WORD_1
	v_fma_f16 v13, v29, v37, v13
	v_fma_f16 v32, v32, 2.0, -v12
	ds_write_b16 v49, v31
	ds_write_b16 v49, v55 offset:34
	v_add3_u32 v31, 0, v17, v18
	v_fma_f16 v14, v28, v24, v14
	v_sub_f16_e32 v56, v33, v13
	ds_write_b16 v31, v32
	ds_write_b16 v31, v12 offset:34
	v_mul_u32_u24_e32 v12, 0x44, v19
	v_lshlrev_b32_e32 v17, 1, v20
	v_mul_f16_sdwa v15, v45, v6 dst_sel:DWORD dst_unused:UNUSED_PAD src0_sel:DWORD src1_sel:WORD_1
	v_mul_f16_sdwa v16, v44, v3 dst_sel:DWORD dst_unused:UNUSED_PAD src0_sel:DWORD src1_sel:WORD_1
	v_sub_f16_e32 v4, v34, v14
	v_fma_f16 v33, v33, 2.0, -v56
	v_add3_u32 v32, 0, v12, v17
	v_mul_u32_u24_e32 v12, 0x44, v21
	v_lshlrev_b32_e32 v17, 1, v22
	v_fma_f16 v15, v27, v6, v15
	v_fma_f16 v16, v26, v3, v16
	v_fma_f16 v34, v34, 2.0, -v4
	ds_write_b16 v32, v33
	ds_write_b16 v32, v56 offset:34
	v_add3_u32 v33, 0, v12, v17
	v_mul_u32_u24_e32 v12, 0x44, v50
	v_lshlrev_b32_e32 v17, 1, v51
	v_sub_f16_e32 v14, v35, v15
	v_sub_f16_e32 v13, v36, v16
	ds_write_b16 v33, v34
	ds_write_b16 v33, v4 offset:34
	v_add3_u32 v34, 0, v12, v17
	v_mul_u32_u24_e32 v12, 0x44, v52
	v_lshlrev_b32_e32 v17, 1, v53
	v_fma_f16 v16, v35, 2.0, -v14
	v_fma_f16 v15, v36, 2.0, -v13
	v_add3_u32 v35, 0, v12, v17
	ds_write_b16 v34, v16
	ds_write_b16 v34, v14 offset:34
	ds_write_b16 v35, v15
	ds_write_b16 v35, v13 offset:34
	s_waitcnt lgkmcnt(0)
	s_barrier
	ds_read_u16 v12, v0
	ds_read_u16 v22, v0 offset:408
	ds_read_u16 v21, v0 offset:816
	;; [unrolled: 1-line block ×6, first 2 shown]
	s_and_saveexec_b64 s[2:3], s[0:1]
	s_cbranch_execz .LBB0_17
; %bb.16:
	ds_read_u16 v2, v0 offset:2278
	ds_read_u16 v36, v0 offset:2686
	;; [unrolled: 1-line block ×7, first 2 shown]
	s_mov_b32 s4, 0x5040100
	s_waitcnt lgkmcnt(5)
	v_perm_b32 v2, v36, v2, s4
.LBB0_17:
	s_or_b64 exec, exec, s[2:3]
	v_mul_f16_sdwa v30, v30, v41 dst_sel:DWORD dst_unused:UNUSED_PAD src0_sel:DWORD src1_sel:WORD_1
	v_fma_f16 v30, v48, v41, -v30
	v_mul_f16_sdwa v23, v23, v39 dst_sel:DWORD dst_unused:UNUSED_PAD src0_sel:DWORD src1_sel:WORD_1
	v_mul_f16_sdwa v29, v29, v37 dst_sel:DWORD dst_unused:UNUSED_PAD src0_sel:DWORD src1_sel:WORD_1
	;; [unrolled: 1-line block ×5, first 2 shown]
	v_fma_f16 v23, v43, v39, -v23
	v_fma_f16 v29, v47, v37, -v29
	;; [unrolled: 1-line block ×5, first 2 shown]
	v_sub_f16_e32 v28, v42, v30
	v_fma_f16 v30, v42, 2.0, -v28
	v_sub_f16_e32 v36, v40, v23
	v_sub_f16_e32 v29, v38, v29
	v_sub_f16_e32 v3, v25, v24
	v_sub_f16_e32 v24, v8, v6
	v_sub_f16_e32 v27, v11, v26
	v_fma_f16 v37, v40, 2.0, -v36
	v_fma_f16 v38, v38, 2.0, -v29
	;; [unrolled: 1-line block ×5, first 2 shown]
	s_waitcnt lgkmcnt(0)
	s_barrier
	ds_write_b16 v49, v30
	ds_write_b16 v49, v28 offset:34
	ds_write_b16 v31, v37
	ds_write_b16 v31, v36 offset:34
	;; [unrolled: 2-line block ×6, first 2 shown]
	s_waitcnt lgkmcnt(0)
	s_barrier
	ds_read_u16 v11, v0
	ds_read_u16 v32, v0 offset:408
	ds_read_u16 v31, v0 offset:816
	;; [unrolled: 1-line block ×6, first 2 shown]
	s_and_saveexec_b64 s[2:3], s[0:1]
	s_cbranch_execz .LBB0_19
; %bb.18:
	ds_read_u16 v5, v0 offset:2278
	ds_read_u16 v6, v0 offset:2686
	;; [unrolled: 1-line block ×7, first 2 shown]
	s_mov_b32 s4, 0x5040100
	s_waitcnt lgkmcnt(5)
	v_perm_b32 v5, v6, v5, s4
.LBB0_19:
	s_or_b64 exec, exec, s[2:3]
	s_movk_i32 s2, 0xf1
	v_mul_lo_u16_sdwa v6, v7, s2 dst_sel:DWORD dst_unused:UNUSED_PAD src0_sel:BYTE_0 src1_sel:DWORD
	v_lshrrev_b16_e32 v39, 13, v6
	v_mul_lo_u16_e32 v6, 34, v39
	v_sub_u16_e32 v48, v7, v6
	v_mov_b32_e32 v33, 6
	v_mul_u32_u24_sdwa v6, v48, v33 dst_sel:DWORD dst_unused:UNUSED_PAD src0_sel:BYTE_0 src1_sel:DWORD
	v_lshlrev_b32_e32 v8, 2, v6
	v_mul_lo_u16_sdwa v6, v1, s2 dst_sel:DWORD dst_unused:UNUSED_PAD src0_sel:BYTE_0 src1_sel:DWORD
	v_lshrrev_b16_e32 v6, 13, v6
	v_mul_lo_u16_e32 v34, 34, v6
	global_load_dwordx4 v[35:38], v8, s[8:9] offset:68
	global_load_dwordx2 v[40:41], v8, s[8:9] offset:84
	v_sub_u16_e32 v8, v1, v34
	v_mul_u32_u24_sdwa v33, v8, v33 dst_sel:DWORD dst_unused:UNUSED_PAD src0_sel:BYTE_0 src1_sel:DWORD
	v_lshlrev_b32_e32 v33, 2, v33
	global_load_dwordx4 v[42:45], v33, s[8:9] offset:68
	global_load_dwordx2 v[46:47], v33, s[8:9] offset:84
	v_lshrrev_b32_e32 v49, 16, v2
	v_lshrrev_b32_e32 v50, 16, v5
	s_movk_i32 s5, 0x2b26
	s_mov_b32 s4, 0xbb00
	s_mov_b32 s6, 0xbcab
	s_movk_i32 s7, 0x39e0
	s_mov_b32 s10, 0xb9e0
	s_mov_b32 s11, 0xb574
	s_movk_i32 s15, 0x3574
	s_mov_b32 s14, 0xb70e
	s_waitcnt vmcnt(0) lgkmcnt(0)
	s_barrier
	v_mul_f16_sdwa v33, v32, v35 dst_sel:DWORD dst_unused:UNUSED_PAD src0_sel:DWORD src1_sel:WORD_1
	v_mul_f16_sdwa v34, v22, v35 dst_sel:DWORD dst_unused:UNUSED_PAD src0_sel:DWORD src1_sel:WORD_1
	;; [unrolled: 1-line block ×14, first 2 shown]
	v_fma_f16 v33, v22, v35, v33
	v_fma_f16 v35, v32, v35, -v34
	v_fma_f16 v32, v21, v36, v51
	v_fma_f16 v18, v18, v40, v57
	;; [unrolled: 1-line block ×3, first 2 shown]
	v_mul_f16_sdwa v61, v23, v42 dst_sel:DWORD dst_unused:UNUSED_PAD src0_sel:DWORD src1_sel:WORD_1
	v_mul_f16_sdwa v62, v16, v42 dst_sel:DWORD dst_unused:UNUSED_PAD src0_sel:DWORD src1_sel:WORD_1
	;; [unrolled: 1-line block ×6, first 2 shown]
	v_fma_f16 v36, v31, v36, -v52
	v_fma_f16 v34, v20, v37, v53
	v_fma_f16 v37, v30, v37, -v54
	v_fma_f16 v19, v19, v38, v55
	v_fma_f16 v38, v29, v38, -v56
	v_fma_f16 v40, v28, v40, -v58
	;; [unrolled: 1-line block ×3, first 2 shown]
	v_fma_f16 v26, v13, v45, v67
	v_fma_f16 v28, v2, v46, v69
	v_add_f16_e32 v2, v33, v17
	v_add_f16_e32 v13, v32, v18
	v_mul_f16_sdwa v64, v14, v43 dst_sel:DWORD dst_unused:UNUSED_PAD src0_sel:DWORD src1_sel:WORD_1
	v_mul_f16_sdwa v66, v15, v44 dst_sel:DWORD dst_unused:UNUSED_PAD src0_sel:DWORD src1_sel:WORD_1
	v_fma_f16 v20, v16, v42, v61
	v_fma_f16 v23, v23, v42, -v62
	v_fma_f16 v21, v14, v43, v63
	v_fma_f16 v22, v15, v44, v65
	v_fma_f16 v29, v5, v46, -v70
	v_sub_f16_e32 v5, v35, v41
	v_sub_f16_e32 v14, v36, v40
	v_add_f16_e32 v15, v34, v19
	v_sub_f16_e32 v16, v38, v37
	v_add_f16_e32 v42, v13, v2
	v_fma_f16 v24, v24, v43, -v64
	v_fma_f16 v25, v25, v44, -v66
	;; [unrolled: 1-line block ×3, first 2 shown]
	v_sub_f16_e32 v43, v13, v2
	v_sub_f16_e32 v2, v2, v15
	;; [unrolled: 1-line block ×3, first 2 shown]
	v_add_f16_e32 v44, v16, v14
	v_sub_f16_e32 v45, v16, v14
	v_sub_f16_e32 v14, v14, v5
	v_add_f16_e32 v15, v15, v42
	v_sub_f16_e32 v16, v5, v16
	v_add_f16_e32 v5, v44, v5
	v_mul_f16_e32 v2, 0x3a52, v2
	v_mul_f16_e32 v42, 0x2b26, v13
	v_mul_f16_e32 v44, 0x3846, v45
	v_mul_f16_e32 v45, 0xbb00, v14
	v_add_f16_e32 v12, v12, v15
	v_fma_f16 v13, v13, s5, v2
	v_fma_f16 v15, v15, s6, v12
	v_fma_f16 v42, v43, s7, -v42
	v_fma_f16 v2, v43, s10, -v2
	v_fma_f16 v43, v16, s11, v44
	v_fma_f16 v14, v14, s4, -v44
	v_fma_f16 v16, v16, s15, -v45
	v_add_f16_e32 v13, v13, v15
	v_add_f16_e32 v42, v42, v15
	;; [unrolled: 1-line block ×3, first 2 shown]
	v_fma_f16 v15, v5, s14, v43
	v_fma_f16 v14, v5, s14, v14
	;; [unrolled: 1-line block ×3, first 2 shown]
	v_add_f16_e32 v43, v5, v2
	v_sub_f16_e32 v5, v2, v5
	v_mov_b32_e32 v2, 1
	v_mul_f16_sdwa v71, v50, v47 dst_sel:DWORD dst_unused:UNUSED_PAD src0_sel:DWORD src1_sel:WORD_1
	v_mul_f16_sdwa v72, v49, v47 dst_sel:DWORD dst_unused:UNUSED_PAD src0_sel:DWORD src1_sel:WORD_1
	v_add_f16_e32 v16, v15, v13
	v_sub_f16_e32 v13, v13, v15
	v_mul_u32_u24_e32 v15, 0x1dc, v39
	v_lshlrev_b32_sdwa v39, v2, v48 dst_sel:DWORD dst_unused:UNUSED_PAD src0_sel:DWORD src1_sel:BYTE_0
	v_fma_f16 v30, v49, v47, v71
	v_fma_f16 v31, v50, v47, -v72
	v_add3_u32 v39, 0, v15, v39
	v_sub_f16_e32 v44, v42, v14
	v_add_f16_e32 v14, v14, v42
	ds_write_b16 v39, v12
	ds_write_b16 v39, v16 offset:68
	ds_write_b16 v39, v43 offset:136
	;; [unrolled: 1-line block ×6, first 2 shown]
	s_and_saveexec_b64 s[2:3], s[0:1]
	s_cbranch_execz .LBB0_21
; %bb.20:
	v_add_f16_e32 v5, v20, v30
	v_add_f16_e32 v14, v21, v28
	;; [unrolled: 1-line block ×4, first 2 shown]
	v_sub_f16_e32 v43, v27, v25
	v_sub_f16_e32 v45, v24, v29
	;; [unrolled: 1-line block ×4, first 2 shown]
	v_add_f16_e32 v12, v12, v42
	v_sub_f16_e32 v42, v23, v31
	v_sub_f16_e32 v46, v43, v45
	v_mul_f16_e32 v13, 0x3a52, v13
	v_mul_f16_e32 v16, 0x2b26, v15
	v_add_f16_e32 v4, v4, v12
	v_sub_f16_e32 v44, v42, v43
	v_mul_f16_e32 v46, 0x3846, v46
	v_add_f16_e32 v43, v43, v45
	v_sub_f16_e32 v5, v14, v5
	v_sub_f16_e32 v14, v45, v42
	v_fma_f16 v15, v15, s5, v13
	v_fma_f16 v12, v12, s6, v4
	;; [unrolled: 1-line block ×3, first 2 shown]
	v_add_f16_e32 v43, v43, v42
	v_fma_f16 v13, v5, s10, -v13
	v_mul_f16_e32 v42, 0xbb00, v14
	v_fma_f16 v14, v14, s4, -v46
	v_fma_f16 v5, v5, s7, -v16
	v_add_f16_e32 v15, v15, v12
	v_fma_f16 v47, v43, s14, v47
	v_fma_f16 v14, v43, s14, v14
	v_add_f16_e32 v5, v5, v12
	v_sub_f16_e32 v48, v15, v47
	v_add_f16_e32 v13, v13, v12
	v_fma_f16 v42, v44, s15, -v42
	v_add_f16_e32 v12, v14, v5
	v_sub_f16_e32 v5, v5, v14
	v_add_f16_e32 v14, v47, v15
	v_mul_u32_u24_e32 v15, 0x1dc, v6
	v_lshlrev_b32_sdwa v2, v2, v8 dst_sel:DWORD dst_unused:UNUSED_PAD src0_sel:DWORD src1_sel:BYTE_0
	v_fma_f16 v42, v43, s14, v42
	v_add3_u32 v2, 0, v15, v2
	v_sub_f16_e32 v44, v13, v42
	v_add_f16_e32 v13, v42, v13
	ds_write_b16 v2, v4
	ds_write_b16 v2, v14 offset:68
	ds_write_b16 v2, v13 offset:136
	;; [unrolled: 1-line block ×6, first 2 shown]
.LBB0_21:
	s_or_b64 exec, exec, s[2:3]
	v_add_f16_e32 v2, v35, v41
	v_add_f16_e32 v5, v36, v40
	v_sub_f16_e32 v4, v33, v17
	v_sub_f16_e32 v12, v32, v18
	v_add_f16_e32 v13, v37, v38
	v_sub_f16_e32 v14, v19, v34
	v_add_f16_e32 v15, v5, v2
	v_sub_f16_e32 v16, v5, v2
	v_sub_f16_e32 v2, v2, v13
	;; [unrolled: 1-line block ×3, first 2 shown]
	v_add_f16_e32 v17, v14, v12
	v_sub_f16_e32 v18, v14, v12
	v_sub_f16_e32 v12, v12, v4
	v_add_f16_e32 v13, v13, v15
	v_sub_f16_e32 v14, v4, v14
	v_add_f16_e32 v4, v17, v4
	v_add_f16_e32 v32, v11, v13
	v_mul_f16_e32 v2, 0x3a52, v2
	v_mul_f16_e32 v11, 0x2b26, v5
	;; [unrolled: 1-line block ×4, first 2 shown]
	v_fma_f16 v13, v13, s6, v32
	v_fma_f16 v5, v5, s5, v2
	v_fma_f16 v11, v16, s7, -v11
	v_fma_f16 v2, v16, s10, -v2
	v_fma_f16 v16, v14, s11, v15
	v_fma_f16 v12, v12, s4, -v15
	v_fma_f16 v14, v14, s15, -v17
	v_add_f16_e32 v5, v5, v13
	v_add_f16_e32 v11, v11, v13
	;; [unrolled: 1-line block ×3, first 2 shown]
	v_fma_f16 v13, v4, s14, v16
	v_fma_f16 v12, v4, s14, v12
	;; [unrolled: 1-line block ×3, first 2 shown]
	v_sub_f16_e32 v33, v5, v13
	v_sub_f16_e32 v34, v2, v4
	v_add_f16_e32 v35, v12, v11
	v_sub_f16_e32 v36, v11, v12
	v_add_f16_e32 v37, v4, v2
	v_add_f16_e32 v38, v13, v5
	s_waitcnt lgkmcnt(0)
	s_barrier
	ds_read_u16 v2, v0
	ds_read_u16 v11, v0 offset:1904
	ds_read_u16 v15, v0 offset:1666
	;; [unrolled: 1-line block ×11, first 2 shown]
	s_waitcnt lgkmcnt(0)
	s_barrier
	ds_write_b16 v39, v32
	ds_write_b16 v39, v33 offset:68
	ds_write_b16 v39, v34 offset:136
	;; [unrolled: 1-line block ×6, first 2 shown]
	s_and_saveexec_b64 s[2:3], s[0:1]
	s_cbranch_execz .LBB0_23
; %bb.22:
	v_add_f16_e32 v23, v23, v31
	v_add_f16_e32 v24, v24, v29
	;; [unrolled: 1-line block ×3, first 2 shown]
	v_sub_f16_e32 v22, v26, v22
	v_add_f16_e32 v26, v24, v23
	v_sub_f16_e32 v27, v24, v23
	v_sub_f16_e32 v23, v23, v25
	;; [unrolled: 1-line block ×3, first 2 shown]
	v_mul_f16_e32 v23, 0x3a52, v23
	s_movk_i32 s0, 0x2b26
	v_sub_f16_e32 v21, v21, v28
	v_add_f16_e32 v25, v25, v26
	v_mul_f16_e32 v26, 0x2b26, v24
	v_fma_f16 v24, v24, s0, v23
	s_movk_i32 s0, 0x39e0
	v_sub_f16_e32 v20, v20, v30
	v_add_f16_e32 v28, v22, v21
	v_sub_f16_e32 v29, v22, v21
	v_fma_f16 v26, v27, s0, -v26
	s_mov_b32 s0, 0xb9e0
	v_sub_f16_e32 v22, v20, v22
	v_sub_f16_e32 v21, v21, v20
	v_add_f16_e32 v20, v28, v20
	v_mul_f16_e32 v28, 0x3846, v29
	v_fma_f16 v23, v27, s0, -v23
	s_mov_b32 s0, 0xb574
	v_add_f16_e32 v3, v3, v25
	s_mov_b32 s1, 0xbb00
	v_mul_f16_e32 v29, 0xbb00, v21
	s_mov_b32 s4, 0xbcab
	v_fma_f16 v27, v22, s0, v28
	s_movk_i32 s0, 0x3574
	v_fma_f16 v25, v25, s4, v3
	v_fma_f16 v21, v21, s1, -v28
	v_fma_f16 v22, v22, s0, -v29
	s_mov_b32 s0, 0xb70e
	v_add_f16_e32 v24, v24, v25
	v_add_f16_e32 v26, v26, v25
	;; [unrolled: 1-line block ×3, first 2 shown]
	v_fma_f16 v25, v20, s0, v27
	v_fma_f16 v21, v20, s0, v21
	;; [unrolled: 1-line block ×3, first 2 shown]
	v_sub_f16_e32 v22, v24, v25
	v_sub_f16_e32 v27, v23, v20
	v_add_f16_e32 v20, v20, v23
	v_add_f16_e32 v23, v25, v24
	v_mov_b32_e32 v24, 1
	v_mul_u32_u24_e32 v6, 0x1dc, v6
	v_lshlrev_b32_sdwa v8, v24, v8 dst_sel:DWORD dst_unused:UNUSED_PAD src0_sel:DWORD src1_sel:BYTE_0
	v_add3_u32 v6, 0, v6, v8
	v_add_f16_e32 v28, v21, v26
	v_sub_f16_e32 v21, v26, v21
	ds_write_b16 v6, v3
	ds_write_b16 v6, v22 offset:68
	ds_write_b16 v6, v27 offset:136
	;; [unrolled: 1-line block ×6, first 2 shown]
.LBB0_23:
	s_or_b64 exec, exec, s[2:3]
	s_waitcnt lgkmcnt(0)
	s_barrier
	s_and_saveexec_b64 s[0:1], vcc
	s_cbranch_execz .LBB0_25
; %bb.24:
	v_mul_u32_u24_e32 v3, 5, v1
	v_lshlrev_b32_e32 v3, 2, v3
	global_load_dwordx4 v[20:23], v3, s[8:9] offset:884
	global_load_dword v6, v3, s[8:9] offset:900
	v_mul_u32_u24_e32 v24, 5, v7
	v_lshlrev_b32_e32 v30, 2, v24
	ds_read_u16 v3, v0 offset:1666
	ds_read_u16 v8, v0 offset:1428
	;; [unrolled: 1-line block ×4, first 2 shown]
	global_load_dwordx4 v[24:27], v30, s[8:9] offset:884
	ds_read_u16 v31, v0 offset:714
	ds_read_u16 v32, v0 offset:476
	;; [unrolled: 1-line block ×3, first 2 shown]
	ds_read_u16 v34, v0
	ds_read_u16 v35, v0 offset:2618
	ds_read_u16 v36, v0 offset:2380
	;; [unrolled: 1-line block ×4, first 2 shown]
	global_load_dword v30, v30, s[8:9] offset:900
	s_mov_b32 s0, 0xbaee
	s_movk_i32 s1, 0x3aee
	v_add_co_u32_e32 v9, vcc, s12, v9
	s_waitcnt vmcnt(3)
	v_lshrrev_b32_e32 v39, 16, v22
	v_mul_f16_sdwa v40, v17, v21 dst_sel:DWORD dst_unused:UNUSED_PAD src0_sel:DWORD src1_sel:WORD_1
	v_mul_f16_sdwa v41, v19, v23 dst_sel:DWORD dst_unused:UNUSED_PAD src0_sel:DWORD src1_sel:WORD_1
	s_waitcnt vmcnt(2)
	v_lshrrev_b32_e32 v46, 16, v6
	v_lshrrev_b32_e32 v38, 16, v20
	s_waitcnt lgkmcnt(9)
	v_mul_f16_sdwa v42, v28, v21 dst_sel:DWORD dst_unused:UNUSED_PAD src0_sel:DWORD src1_sel:WORD_1
	s_waitcnt lgkmcnt(1)
	v_mul_f16_sdwa v43, v37, v23 dst_sel:DWORD dst_unused:UNUSED_PAD src0_sel:DWORD src1_sel:WORD_1
	v_mul_f16_e32 v44, v16, v20
	v_mul_f16_e32 v45, v15, v22
	v_mul_f16_e32 v47, v18, v6
	v_fma_f16 v28, v28, v21, -v40
	v_fma_f16 v37, v37, v23, -v41
	v_mul_f16_e32 v15, v15, v39
	v_mul_f16_e32 v18, v18, v46
	v_fma_f16 v17, v17, v21, v42
	v_fma_f16 v19, v19, v23, v43
	;; [unrolled: 1-line block ×5, first 2 shown]
	v_mul_f16_e32 v16, v16, v38
	v_add_f16_e32 v38, v28, v37
	v_fma_f16 v3, v3, v22, -v15
	v_fma_f16 v6, v35, v6, -v18
	v_add_f16_e32 v41, v23, v40
	v_fma_f16 v15, v31, v20, -v16
	v_add_f16_e32 v18, v33, v28
	v_sub_f16_e32 v22, v28, v37
	v_fma_f16 v28, v38, -0.5, v33
	v_add_f16_e32 v33, v3, v6
	v_sub_f16_e32 v39, v17, v19
	v_sub_f16_e32 v16, v23, v40
	v_add_f16_e32 v20, v17, v19
	v_add_f16_e32 v17, v14, v17
	;; [unrolled: 1-line block ×3, first 2 shown]
	v_fma_f16 v21, v41, -0.5, v21
	v_sub_f16_e32 v31, v3, v6
	v_add_f16_e32 v3, v15, v3
	v_fma_f16 v15, v33, -0.5, v15
	v_add_f16_e32 v17, v17, v19
	v_add_f16_e32 v19, v23, v40
	v_fma_f16 v23, v31, s1, v21
	v_fma_f16 v21, v31, s0, v21
	;; [unrolled: 1-line block ×4, first 2 shown]
	v_add_f16_e32 v18, v18, v37
	v_fma_f16 v14, v20, -0.5, v14
	v_add_f16_e32 v3, v3, v6
	v_mul_f16_e32 v33, 0.5, v15
	v_mul_f16_e32 v15, 0xbaee, v15
	v_fma_f16 v6, v22, s1, v14
	v_fma_f16 v14, v22, s0, v14
	v_sub_f16_e32 v16, v18, v3
	v_add_f16_e32 v18, v18, v3
	v_mul_f16_e32 v3, -0.5, v31
	v_mul_f16_e32 v31, 0xbaee, v31
	v_fma_f16 v15, v21, 0.5, v15
	v_sub_f16_e32 v22, v17, v19
	v_fma_f16 v3, v23, s1, v3
	v_fma_f16 v23, v23, -0.5, v31
	v_sub_f16_e32 v37, v14, v15
	v_add_f16_e32 v14, v14, v15
	v_add_f16_e32 v15, v17, v19
	s_waitcnt vmcnt(1)
	v_mul_f16_sdwa v19, v13, v25 dst_sel:DWORD dst_unused:UNUSED_PAD src0_sel:DWORD src1_sel:WORD_1
	v_sub_f16_e32 v35, v6, v23
	v_add_f16_e32 v6, v6, v23
	v_lshrrev_b32_e32 v17, 16, v26
	v_fma_f16 v19, v29, v25, -v19
	v_mul_f16_sdwa v23, v11, v27 dst_sel:DWORD dst_unused:UNUSED_PAD src0_sel:DWORD src1_sel:WORD_1
	v_mul_f16_sdwa v29, v29, v25 dst_sel:DWORD dst_unused:UNUSED_PAD src0_sel:DWORD src1_sel:WORD_1
	v_fma_f16 v20, v39, s0, v28
	s_waitcnt lgkmcnt(0)
	v_fma_f16 v23, v0, v27, -v23
	v_fma_f16 v13, v13, v25, v29
	v_mul_f16_sdwa v0, v0, v27 dst_sel:DWORD dst_unused:UNUSED_PAD src0_sel:DWORD src1_sel:WORD_1
	v_mul_f16_e32 v29, v5, v26
	s_waitcnt vmcnt(0)
	v_lshrrev_b32_e32 v38, 16, v30
	v_mul_f16_e32 v5, v5, v17
	v_fma_f16 v33, v21, s1, v33
	v_sub_f16_e32 v21, v20, v3
	v_add_f16_e32 v20, v20, v3
	v_lshrrev_b32_e32 v3, 16, v24
	v_fma_f16 v0, v11, v27, v0
	v_mul_f16_e32 v27, v4, v24
	v_fma_f16 v29, v8, v17, v29
	v_fma_f16 v5, v8, v26, -v5
	v_mul_f16_e32 v8, v12, v38
	v_fma_f16 v27, v32, v3, v27
	v_fma_f16 v8, v36, v30, -v8
	v_mul_f16_e32 v3, v4, v3
	v_fma_f16 v28, v39, s1, v28
	v_mul_f16_e32 v39, v12, v30
	v_fma_f16 v3, v32, v24, -v3
	v_add_f16_e32 v4, v5, v8
	v_fma_f16 v39, v36, v38, v39
	v_fma_f16 v4, v4, -0.5, v3
	v_add_f16_e32 v3, v3, v5
	v_add_f16_e32 v40, v29, v39
	v_sub_f16_e32 v12, v5, v8
	v_sub_f16_e32 v24, v29, v39
	v_add_f16_e32 v3, v3, v8
	v_add_f16_e32 v8, v13, v0
	v_sub_f16_e32 v31, v28, v33
	v_add_f16_e32 v28, v28, v33
	v_add_f16_e32 v33, v19, v23
	v_fma_f16 v40, v40, -0.5, v27
	v_fma_f16 v26, v24, s0, v4
	v_fma_f16 v4, v24, s1, v4
	v_fma_f16 v8, v8, -0.5, v2
	v_add_f16_e32 v2, v2, v13
	v_fma_f16 v33, v33, -0.5, v34
	v_sub_f16_e32 v11, v13, v0
	v_fma_f16 v17, v12, s1, v40
	v_fma_f16 v12, v12, s0, v40
	v_mul_f16_e32 v24, 0.5, v4
	v_add_f16_e32 v34, v34, v19
	v_sub_f16_e32 v19, v19, v23
	v_mul_f16_e32 v4, 0xbaee, v4
	v_add_f16_e32 v0, v2, v0
	v_add_f16_e32 v2, v27, v29
	;; [unrolled: 1-line block ×3, first 2 shown]
	v_fma_f16 v23, v19, s1, v8
	v_fma_f16 v8, v19, s0, v8
	v_fma_f16 v4, v12, 0.5, v4
	v_add_f16_e32 v2, v2, v39
	v_fma_f16 v25, v11, s0, v33
	v_fma_f16 v11, v11, s1, v33
	;; [unrolled: 1-line block ×3, first 2 shown]
	v_sub_f16_e32 v12, v8, v4
	v_sub_f16_e32 v13, v0, v2
	v_add_f16_e32 v4, v8, v4
	v_add_f16_e32 v0, v0, v2
	v_mov_b32_e32 v8, 0
	v_mov_b32_e32 v2, s13
	v_sub_f16_e32 v33, v11, v24
	v_sub_f16_e32 v5, v34, v3
	v_add_f16_e32 v11, v11, v24
	v_add_f16_e32 v24, v34, v3
	v_addc_co_u32_e32 v10, vcc, v2, v10, vcc
	v_lshlrev_b64 v[2:3], 2, v[7:8]
	v_mul_f16_e32 v30, -0.5, v26
	v_mul_f16_e32 v26, 0xbaee, v26
	v_add_co_u32_e32 v2, vcc, v9, v2
	v_fma_f16 v30, v17, s1, v30
	v_fma_f16 v17, v17, -0.5, v26
	v_addc_co_u32_e32 v3, vcc, v10, v3, vcc
	v_pack_b32_f16 v0, v0, v24
	v_sub_f16_e32 v26, v23, v17
	v_add_f16_e32 v19, v25, v30
	v_add_f16_e32 v17, v23, v17
	global_store_dword v[2:3], v0, off
	v_pack_b32_f16 v0, v4, v11
	global_store_dword v[2:3], v0, off offset:952
	v_pack_b32_f16 v0, v17, v19
	s_mov_b32 s1, 0x44d72045
	global_store_dword v[2:3], v0, off offset:1904
	v_pack_b32_f16 v0, v13, v5
	v_mul_hi_u32 v5, v1, s1
	global_store_dword v[2:3], v0, off offset:2856
	v_pack_b32_f16 v0, v12, v33
	s_movk_i32 s0, 0x1000
	v_sub_f16_e32 v32, v25, v30
	global_store_dword v[2:3], v0, off offset:3808
	v_add_co_u32_e32 v0, vcc, s0, v2
	v_pack_b32_f16 v4, v26, v32
	v_addc_co_u32_e32 v1, vcc, 0, v3, vcc
	global_store_dword v[0:1], v4, off offset:664
	v_lshrrev_b32_e32 v0, 6, v5
	v_mul_u32_u24_e32 v7, 0x4a6, v0
	v_lshlrev_b64 v[0:1], 2, v[7:8]
	v_pack_b32_f16 v4, v15, v18
	v_add_co_u32_e32 v0, vcc, v2, v0
	v_addc_co_u32_e32 v1, vcc, v3, v1, vcc
	s_movk_i32 s0, 0x1dc
	global_store_dword v[0:1], v4, off offset:476
	v_pack_b32_f16 v4, v14, v28
	v_add_co_u32_e32 v2, vcc, s0, v0
	global_store_dword v[0:1], v4, off offset:1428
	v_pack_b32_f16 v4, v6, v20
	v_addc_co_u32_e32 v3, vcc, 0, v1, vcc
	global_store_dword v[0:1], v4, off offset:2380
	v_pack_b32_f16 v4, v22, v16
	global_store_dword v[0:1], v4, off offset:3332
	v_pack_b32_f16 v4, v37, v31
	v_add_co_u32_e32 v0, vcc, 0x1000, v0
	global_store_dword v[2:3], v4, off offset:3808
	v_pack_b32_f16 v2, v35, v21
	v_addc_co_u32_e32 v1, vcc, 0, v1, vcc
	global_store_dword v[0:1], v2, off offset:1140
.LBB0_25:
	s_endpgm
	.section	.rodata,"a",@progbits
	.p2align	6, 0x0
	.amdhsa_kernel fft_rtc_back_len1428_factors_17_2_7_6_wgs_119_tpt_119_halfLds_half_ip_CI_unitstride_sbrr_dirReg
		.amdhsa_group_segment_fixed_size 0
		.amdhsa_private_segment_fixed_size 0
		.amdhsa_kernarg_size 88
		.amdhsa_user_sgpr_count 6
		.amdhsa_user_sgpr_private_segment_buffer 1
		.amdhsa_user_sgpr_dispatch_ptr 0
		.amdhsa_user_sgpr_queue_ptr 0
		.amdhsa_user_sgpr_kernarg_segment_ptr 1
		.amdhsa_user_sgpr_dispatch_id 0
		.amdhsa_user_sgpr_flat_scratch_init 0
		.amdhsa_user_sgpr_private_segment_size 0
		.amdhsa_uses_dynamic_stack 0
		.amdhsa_system_sgpr_private_segment_wavefront_offset 0
		.amdhsa_system_sgpr_workgroup_id_x 1
		.amdhsa_system_sgpr_workgroup_id_y 0
		.amdhsa_system_sgpr_workgroup_id_z 0
		.amdhsa_system_sgpr_workgroup_info 0
		.amdhsa_system_vgpr_workitem_id 0
		.amdhsa_next_free_vgpr 107
		.amdhsa_next_free_sgpr 45
		.amdhsa_reserve_vcc 1
		.amdhsa_reserve_flat_scratch 0
		.amdhsa_float_round_mode_32 0
		.amdhsa_float_round_mode_16_64 0
		.amdhsa_float_denorm_mode_32 3
		.amdhsa_float_denorm_mode_16_64 3
		.amdhsa_dx10_clamp 1
		.amdhsa_ieee_mode 1
		.amdhsa_fp16_overflow 0
		.amdhsa_exception_fp_ieee_invalid_op 0
		.amdhsa_exception_fp_denorm_src 0
		.amdhsa_exception_fp_ieee_div_zero 0
		.amdhsa_exception_fp_ieee_overflow 0
		.amdhsa_exception_fp_ieee_underflow 0
		.amdhsa_exception_fp_ieee_inexact 0
		.amdhsa_exception_int_div_zero 0
	.end_amdhsa_kernel
	.text
.Lfunc_end0:
	.size	fft_rtc_back_len1428_factors_17_2_7_6_wgs_119_tpt_119_halfLds_half_ip_CI_unitstride_sbrr_dirReg, .Lfunc_end0-fft_rtc_back_len1428_factors_17_2_7_6_wgs_119_tpt_119_halfLds_half_ip_CI_unitstride_sbrr_dirReg
                                        ; -- End function
	.section	.AMDGPU.csdata,"",@progbits
; Kernel info:
; codeLenInByte = 11824
; NumSgprs: 49
; NumVgprs: 107
; ScratchSize: 0
; MemoryBound: 0
; FloatMode: 240
; IeeeMode: 1
; LDSByteSize: 0 bytes/workgroup (compile time only)
; SGPRBlocks: 6
; VGPRBlocks: 26
; NumSGPRsForWavesPerEU: 49
; NumVGPRsForWavesPerEU: 107
; Occupancy: 2
; WaveLimiterHint : 1
; COMPUTE_PGM_RSRC2:SCRATCH_EN: 0
; COMPUTE_PGM_RSRC2:USER_SGPR: 6
; COMPUTE_PGM_RSRC2:TRAP_HANDLER: 0
; COMPUTE_PGM_RSRC2:TGID_X_EN: 1
; COMPUTE_PGM_RSRC2:TGID_Y_EN: 0
; COMPUTE_PGM_RSRC2:TGID_Z_EN: 0
; COMPUTE_PGM_RSRC2:TIDIG_COMP_CNT: 0
	.type	__hip_cuid_211b0348d966ed8e,@object ; @__hip_cuid_211b0348d966ed8e
	.section	.bss,"aw",@nobits
	.globl	__hip_cuid_211b0348d966ed8e
__hip_cuid_211b0348d966ed8e:
	.byte	0                               ; 0x0
	.size	__hip_cuid_211b0348d966ed8e, 1

	.ident	"AMD clang version 19.0.0git (https://github.com/RadeonOpenCompute/llvm-project roc-6.4.0 25133 c7fe45cf4b819c5991fe208aaa96edf142730f1d)"
	.section	".note.GNU-stack","",@progbits
	.addrsig
	.addrsig_sym __hip_cuid_211b0348d966ed8e
	.amdgpu_metadata
---
amdhsa.kernels:
  - .args:
      - .actual_access:  read_only
        .address_space:  global
        .offset:         0
        .size:           8
        .value_kind:     global_buffer
      - .offset:         8
        .size:           8
        .value_kind:     by_value
      - .actual_access:  read_only
        .address_space:  global
        .offset:         16
        .size:           8
        .value_kind:     global_buffer
      - .actual_access:  read_only
        .address_space:  global
        .offset:         24
        .size:           8
        .value_kind:     global_buffer
      - .offset:         32
        .size:           8
        .value_kind:     by_value
      - .actual_access:  read_only
        .address_space:  global
        .offset:         40
        .size:           8
        .value_kind:     global_buffer
      - .actual_access:  read_only
        .address_space:  global
        .offset:         48
        .size:           8
        .value_kind:     global_buffer
      - .offset:         56
        .size:           4
        .value_kind:     by_value
      - .actual_access:  read_only
        .address_space:  global
        .offset:         64
        .size:           8
        .value_kind:     global_buffer
      - .actual_access:  read_only
        .address_space:  global
        .offset:         72
        .size:           8
        .value_kind:     global_buffer
      - .address_space:  global
        .offset:         80
        .size:           8
        .value_kind:     global_buffer
    .group_segment_fixed_size: 0
    .kernarg_segment_align: 8
    .kernarg_segment_size: 88
    .language:       OpenCL C
    .language_version:
      - 2
      - 0
    .max_flat_workgroup_size: 119
    .name:           fft_rtc_back_len1428_factors_17_2_7_6_wgs_119_tpt_119_halfLds_half_ip_CI_unitstride_sbrr_dirReg
    .private_segment_fixed_size: 0
    .sgpr_count:     49
    .sgpr_spill_count: 0
    .symbol:         fft_rtc_back_len1428_factors_17_2_7_6_wgs_119_tpt_119_halfLds_half_ip_CI_unitstride_sbrr_dirReg.kd
    .uniform_work_group_size: 1
    .uses_dynamic_stack: false
    .vgpr_count:     107
    .vgpr_spill_count: 0
    .wavefront_size: 64
amdhsa.target:   amdgcn-amd-amdhsa--gfx906
amdhsa.version:
  - 1
  - 2
...

	.end_amdgpu_metadata
